;; amdgpu-corpus repo=zjin-lcf/HeCBench kind=compiled arch=gfx90a opt=O3
	.text
	.amdgcn_target "amdgcn-amd-amdhsa--gfx90a"
	.amdhsa_code_object_version 6
	.protected	_Z5check11int_fastdivPi ; -- Begin function _Z5check11int_fastdivPi
	.globl	_Z5check11int_fastdivPi
	.p2align	8
	.type	_Z5check11int_fastdivPi,@function
_Z5check11int_fastdivPi:                ; @_Z5check11int_fastdivPi
; %bb.0:
	s_load_dwordx4 s[8:11], s[4:5], 0x0
	s_load_dword s0, s[4:5], 0x24
	s_load_dwordx2 s[2:3], s[4:5], 0x10
	s_waitcnt lgkmcnt(0)
	s_abs_i32 s14, s8
	v_cvt_f32_u32_e32 v1, s14
	s_and_b32 s0, s0, 0xffff
	s_mul_i32 s6, s6, s0
	v_add_u32_e32 v2, s6, v0
	v_rcp_iflag_f32_e32 v1, v1
	s_sub_i32 s0, 0, s14
	s_ashr_i32 s8, s8, 31
	v_ashrrev_i32_e32 v3, 31, v2
	v_mul_f32_e32 v0, 0x4f7ffffe, v1
	v_cvt_u32_f32_e32 v1, v0
	v_sub_u32_e32 v0, 0, v2
	v_max_i32_e32 v4, v2, v0
	v_xor_b32_e32 v3, s8, v3
	v_mul_lo_u32 v5, s0, v1
	v_mul_hi_u32 v5, v1, v5
	v_add_u32_e32 v1, v1, v5
	v_mul_hi_u32 v5, v4, v1
	v_mul_lo_u32 v6, v5, s14
	v_sub_u32_e32 v4, v4, v6
	v_add_u32_e32 v6, 1, v5
	v_cmp_le_u32_e32 vcc, s14, v4
	v_cndmask_b32_e32 v5, v5, v6, vcc
	v_subrev_u32_e32 v6, s14, v4
	v_cndmask_b32_e32 v4, v4, v6, vcc
	v_add_u32_e32 v6, 1, v5
	v_cmp_le_u32_e32 vcc, s14, v4
	v_cndmask_b32_e32 v4, v5, v6, vcc
	v_xor_b32_e32 v4, v4, v3
	v_sub_u32_e32 v3, v4, v3
	v_mul_hi_i32 v4, v2, s9
	v_mad_u64_u32 v[4:5], s[0:1], v2, s11, v[4:5]
	v_ashrrev_i32_e32 v5, s10, v4
	v_lshrrev_b32_e32 v6, 31, v4
	s_cmp_lt_i32 s10, 0
	v_add_u32_e32 v5, v6, v5
	s_cselect_b64 vcc, -1, 0
	v_cndmask_b32_e32 v4, v5, v4, vcc
	v_cmp_ne_u32_e64 s[0:1], v3, v4
	s_and_saveexec_b64 s[4:5], s[0:1]
	s_cbranch_execz .LBB0_5
; %bb.1:
	s_mov_b64 s[12:13], exec
	v_mbcnt_lo_u32_b32 v5, s12, 0
	v_mbcnt_hi_u32_b32 v5, s13, v5
	v_cmp_eq_u32_e64 s[0:1], 0, v5
                                        ; implicit-def: $vgpr6
	s_and_saveexec_b64 s[6:7], s[0:1]
	s_cbranch_execz .LBB0_3
; %bb.2:
	s_bcnt1_i32_b64 s0, s[12:13]
	v_mov_b32_e32 v6, 0
	v_mov_b32_e32 v7, s0
	global_atomic_add v6, v6, v7, s[2:3] glc
.LBB0_3:
	s_or_b64 exec, exec, s[6:7]
	s_waitcnt vmcnt(0)
	v_readfirstlane_b32 s0, v6
	v_add_u32_e32 v5, s0, v5
	v_cmp_eq_u32_e64 s[0:1], 0, v5
	s_and_b64 exec, exec, s[0:1]
	s_cbranch_execz .LBB0_5
; %bb.4:
	v_mov_b32_e32 v5, 0
	global_store_dwordx3 v5, v[2:4], s[2:3] offset:4
.LBB0_5:
	s_or_b64 exec, exec, s[4:5]
	v_sub_u32_e32 v3, 0, v0
	v_max_i32_e32 v3, v0, v3
	v_mul_hi_u32 v1, v3, v1
	v_mul_lo_u32 v4, v1, s14
	v_sub_u32_e32 v3, v3, v4
	v_add_u32_e32 v4, 1, v1
	v_cmp_le_u32_e64 s[0:1], s14, v3
	v_cndmask_b32_e64 v1, v1, v4, s[0:1]
	v_subrev_u32_e32 v4, s14, v3
	v_cndmask_b32_e64 v3, v3, v4, s[0:1]
	v_ashrrev_i32_e32 v2, 31, v0
	v_add_u32_e32 v4, 1, v1
	v_cmp_le_u32_e64 s[0:1], s14, v3
	v_xor_b32_e32 v2, s8, v2
	v_cndmask_b32_e64 v1, v1, v4, s[0:1]
	v_xor_b32_e32 v1, v1, v2
	v_sub_u32_e32 v1, v1, v2
	v_mul_hi_i32 v2, v0, s9
	v_mad_u64_u32 v[2:3], s[0:1], s11, v0, v[2:3]
	v_ashrrev_i32_e32 v3, s10, v2
	v_lshrrev_b32_e32 v4, 31, v2
	v_add_u32_e32 v3, v4, v3
	v_cndmask_b32_e32 v2, v3, v2, vcc
	v_cmp_ne_u32_e32 vcc, v1, v2
	s_and_saveexec_b64 s[0:1], vcc
	s_cbranch_execz .LBB0_10
; %bb.6:
	s_mov_b64 s[4:5], exec
	v_mbcnt_lo_u32_b32 v3, s4, 0
	v_mbcnt_hi_u32_b32 v3, s5, v3
	v_cmp_eq_u32_e32 vcc, 0, v3
                                        ; implicit-def: $vgpr4
	s_and_saveexec_b64 s[0:1], vcc
	s_cbranch_execz .LBB0_8
; %bb.7:
	s_bcnt1_i32_b64 s4, s[4:5]
	v_mov_b32_e32 v4, 0
	v_mov_b32_e32 v5, s4
	global_atomic_add v4, v4, v5, s[2:3] glc
.LBB0_8:
	s_or_b64 exec, exec, s[0:1]
	s_waitcnt vmcnt(0)
	v_readfirstlane_b32 s0, v4
	v_add_u32_e32 v3, s0, v3
	v_cmp_eq_u32_e32 vcc, 0, v3
	s_and_b64 exec, exec, vcc
	s_cbranch_execz .LBB0_10
; %bb.9:
	v_mov_b32_e32 v3, 0
	global_store_dwordx3 v3, v[0:2], s[2:3] offset:4
.LBB0_10:
	s_endpgm
	.section	.rodata,"a",@progbits
	.p2align	6, 0x0
	.amdhsa_kernel _Z5check11int_fastdivPi
		.amdhsa_group_segment_fixed_size 0
		.amdhsa_private_segment_fixed_size 0
		.amdhsa_kernarg_size 280
		.amdhsa_user_sgpr_count 6
		.amdhsa_user_sgpr_private_segment_buffer 1
		.amdhsa_user_sgpr_dispatch_ptr 0
		.amdhsa_user_sgpr_queue_ptr 0
		.amdhsa_user_sgpr_kernarg_segment_ptr 1
		.amdhsa_user_sgpr_dispatch_id 0
		.amdhsa_user_sgpr_flat_scratch_init 0
		.amdhsa_user_sgpr_kernarg_preload_length 0
		.amdhsa_user_sgpr_kernarg_preload_offset 0
		.amdhsa_user_sgpr_private_segment_size 0
		.amdhsa_uses_dynamic_stack 0
		.amdhsa_system_sgpr_private_segment_wavefront_offset 0
		.amdhsa_system_sgpr_workgroup_id_x 1
		.amdhsa_system_sgpr_workgroup_id_y 0
		.amdhsa_system_sgpr_workgroup_id_z 0
		.amdhsa_system_sgpr_workgroup_info 0
		.amdhsa_system_vgpr_workitem_id 0
		.amdhsa_next_free_vgpr 8
		.amdhsa_next_free_sgpr 15
		.amdhsa_accum_offset 8
		.amdhsa_reserve_vcc 1
		.amdhsa_reserve_flat_scratch 0
		.amdhsa_float_round_mode_32 0
		.amdhsa_float_round_mode_16_64 0
		.amdhsa_float_denorm_mode_32 3
		.amdhsa_float_denorm_mode_16_64 3
		.amdhsa_dx10_clamp 1
		.amdhsa_ieee_mode 1
		.amdhsa_fp16_overflow 0
		.amdhsa_tg_split 0
		.amdhsa_exception_fp_ieee_invalid_op 0
		.amdhsa_exception_fp_denorm_src 0
		.amdhsa_exception_fp_ieee_div_zero 0
		.amdhsa_exception_fp_ieee_overflow 0
		.amdhsa_exception_fp_ieee_underflow 0
		.amdhsa_exception_fp_ieee_inexact 0
		.amdhsa_exception_int_div_zero 0
	.end_amdhsa_kernel
	.text
.Lfunc_end0:
	.size	_Z5check11int_fastdivPi, .Lfunc_end0-_Z5check11int_fastdivPi
                                        ; -- End function
	.section	.AMDGPU.csdata,"",@progbits
; Kernel info:
; codeLenInByte = 568
; NumSgprs: 19
; NumVgprs: 8
; NumAgprs: 0
; TotalNumVgprs: 8
; ScratchSize: 0
; MemoryBound: 0
; FloatMode: 240
; IeeeMode: 1
; LDSByteSize: 0 bytes/workgroup (compile time only)
; SGPRBlocks: 2
; VGPRBlocks: 0
; NumSGPRsForWavesPerEU: 19
; NumVGPRsForWavesPerEU: 8
; AccumOffset: 8
; Occupancy: 8
; WaveLimiterHint : 0
; COMPUTE_PGM_RSRC2:SCRATCH_EN: 0
; COMPUTE_PGM_RSRC2:USER_SGPR: 6
; COMPUTE_PGM_RSRC2:TRAP_HANDLER: 0
; COMPUTE_PGM_RSRC2:TGID_X_EN: 1
; COMPUTE_PGM_RSRC2:TGID_Y_EN: 0
; COMPUTE_PGM_RSRC2:TGID_Z_EN: 0
; COMPUTE_PGM_RSRC2:TIDIG_COMP_CNT: 0
; COMPUTE_PGM_RSRC3_GFX90A:ACCUM_OFFSET: 1
; COMPUTE_PGM_RSRC3_GFX90A:TG_SPLIT: 0
	.section	.text._Z15throughput_testIiEvT_S0_S0_iPi,"axG",@progbits,_Z15throughput_testIiEvT_S0_S0_iPi,comdat
	.protected	_Z15throughput_testIiEvT_S0_S0_iPi ; -- Begin function _Z15throughput_testIiEvT_S0_S0_iPi
	.globl	_Z15throughput_testIiEvT_S0_S0_iPi
	.p2align	8
	.type	_Z15throughput_testIiEvT_S0_S0_iPi,@function
_Z15throughput_testIiEvT_S0_S0_iPi:     ; @_Z15throughput_testIiEvT_S0_S0_iPi
; %bb.0:
	s_load_dwordx4 s[0:3], s[4:5], 0x0
	s_load_dword s7, s[4:5], 0x24
	s_waitcnt lgkmcnt(0)
	s_abs_i32 s8, s0
	v_cvt_f32_u32_e32 v1, s8
	s_and_b32 s7, s7, 0xffff
	s_mul_i32 s6, s6, s7
	v_add_u32_e32 v0, s6, v0
	v_rcp_iflag_f32_e32 v1, v1
	s_sub_i32 s7, 0, s8
	v_sub_u32_e32 v3, 0, v0
	v_ashrrev_i32_e32 v2, 31, v0
	v_mul_f32_e32 v1, 0x4f7ffffe, v1
	v_cvt_u32_f32_e32 v1, v1
	v_max_i32_e32 v0, v0, v3
	s_ashr_i32 s0, s0, 31
	v_xor_b32_e32 v4, s0, v2
	v_mul_lo_u32 v3, s7, v1
	v_mul_hi_u32 v3, v1, v3
	v_add_u32_e32 v1, v1, v3
	v_mul_hi_u32 v1, v0, v1
	v_mul_lo_u32 v3, v1, s8
	v_sub_u32_e32 v3, v0, v3
	v_add_u32_e32 v5, 1, v1
	v_cmp_le_u32_e32 vcc, s8, v3
	s_abs_i32 s0, s1
	v_cndmask_b32_e32 v1, v1, v5, vcc
	v_cvt_f32_u32_e32 v5, s0
	v_subrev_u32_e32 v6, s8, v3
	v_cndmask_b32_e32 v3, v3, v6, vcc
	v_cmp_le_u32_e32 vcc, s8, v3
	v_rcp_iflag_f32_e32 v5, v5
	v_add_u32_e32 v6, 1, v1
	v_cndmask_b32_e32 v1, v1, v6, vcc
	v_xor_b32_e32 v1, v1, v4
	v_mul_f32_e32 v3, 0x4f7ffffe, v5
	v_cvt_u32_f32_e32 v3, v3
	s_ashr_i32 s1, s1, 31
	v_sub_u32_e32 v1, v1, v4
	v_xor_b32_e32 v4, s1, v2
	s_sub_i32 s1, 0, s0
	v_mul_lo_u32 v5, s1, v3
	v_mul_hi_u32 v5, v3, v5
	v_add_u32_e32 v3, v3, v5
	v_mul_hi_u32 v3, v0, v3
	v_mul_lo_u32 v5, v3, s0
	v_sub_u32_e32 v5, v0, v5
	v_add_u32_e32 v6, 1, v3
	v_cmp_le_u32_e32 vcc, s0, v5
	s_abs_i32 s1, s2
	v_cndmask_b32_e32 v3, v3, v6, vcc
	v_cvt_f32_u32_e32 v6, s1
	v_subrev_u32_e32 v7, s0, v5
	v_cndmask_b32_e32 v5, v5, v7, vcc
	v_add_u32_e32 v7, 1, v3
	v_rcp_iflag_f32_e32 v6, v6
	v_cmp_le_u32_e32 vcc, s0, v5
	v_cndmask_b32_e32 v3, v3, v7, vcc
	v_xor_b32_e32 v3, v3, v4
	v_sub_u32_e32 v3, v3, v4
	v_mul_f32_e32 v4, 0x4f7ffffe, v6
	v_cvt_u32_f32_e32 v4, v4
	s_ashr_i32 s0, s2, 31
	v_xor_b32_e32 v2, s0, v2
	s_sub_i32 s0, 0, s1
	v_mul_lo_u32 v5, s0, v4
	v_mul_hi_u32 v5, v4, v5
	v_add_u32_e32 v4, v4, v5
	v_mul_hi_u32 v4, v0, v4
	v_mul_lo_u32 v5, v4, s1
	v_sub_u32_e32 v0, v0, v5
	v_add_u32_e32 v5, 1, v4
	v_cmp_le_u32_e32 vcc, s1, v0
	v_cndmask_b32_e32 v4, v4, v5, vcc
	v_subrev_u32_e32 v5, s1, v0
	v_cndmask_b32_e32 v0, v0, v5, vcc
	v_add_u32_e32 v5, 1, v4
	v_cmp_le_u32_e32 vcc, s1, v0
	v_cndmask_b32_e32 v0, v4, v5, vcc
	v_xor_b32_e32 v0, v0, v2
	v_sub_u32_e32 v0, v0, v2
	v_add3_u32 v0, v3, v1, v0
	s_cmp_lg_u32 s3, 0
	v_cmp_ne_u32_e32 vcc, 0, v0
	s_cselect_b64 s[0:1], -1, 0
	s_and_b64 s[0:1], s[0:1], vcc
	s_and_saveexec_b64 s[2:3], s[0:1]
	s_cbranch_execz .LBB1_2
; %bb.1:
	s_load_dwordx2 s[0:1], s[4:5], 0x10
	v_mov_b32_e32 v1, 0
	s_waitcnt lgkmcnt(0)
	global_store_dword v1, v0, s[0:1]
.LBB1_2:
	s_endpgm
	.section	.rodata,"a",@progbits
	.p2align	6, 0x0
	.amdhsa_kernel _Z15throughput_testIiEvT_S0_S0_iPi
		.amdhsa_group_segment_fixed_size 0
		.amdhsa_private_segment_fixed_size 0
		.amdhsa_kernarg_size 280
		.amdhsa_user_sgpr_count 6
		.amdhsa_user_sgpr_private_segment_buffer 1
		.amdhsa_user_sgpr_dispatch_ptr 0
		.amdhsa_user_sgpr_queue_ptr 0
		.amdhsa_user_sgpr_kernarg_segment_ptr 1
		.amdhsa_user_sgpr_dispatch_id 0
		.amdhsa_user_sgpr_flat_scratch_init 0
		.amdhsa_user_sgpr_kernarg_preload_length 0
		.amdhsa_user_sgpr_kernarg_preload_offset 0
		.amdhsa_user_sgpr_private_segment_size 0
		.amdhsa_uses_dynamic_stack 0
		.amdhsa_system_sgpr_private_segment_wavefront_offset 0
		.amdhsa_system_sgpr_workgroup_id_x 1
		.amdhsa_system_sgpr_workgroup_id_y 0
		.amdhsa_system_sgpr_workgroup_id_z 0
		.amdhsa_system_sgpr_workgroup_info 0
		.amdhsa_system_vgpr_workitem_id 0
		.amdhsa_next_free_vgpr 8
		.amdhsa_next_free_sgpr 9
		.amdhsa_accum_offset 8
		.amdhsa_reserve_vcc 1
		.amdhsa_reserve_flat_scratch 0
		.amdhsa_float_round_mode_32 0
		.amdhsa_float_round_mode_16_64 0
		.amdhsa_float_denorm_mode_32 3
		.amdhsa_float_denorm_mode_16_64 3
		.amdhsa_dx10_clamp 1
		.amdhsa_ieee_mode 1
		.amdhsa_fp16_overflow 0
		.amdhsa_tg_split 0
		.amdhsa_exception_fp_ieee_invalid_op 0
		.amdhsa_exception_fp_denorm_src 0
		.amdhsa_exception_fp_ieee_div_zero 0
		.amdhsa_exception_fp_ieee_overflow 0
		.amdhsa_exception_fp_ieee_underflow 0
		.amdhsa_exception_fp_ieee_inexact 0
		.amdhsa_exception_int_div_zero 0
	.end_amdhsa_kernel
	.section	.text._Z15throughput_testIiEvT_S0_S0_iPi,"axG",@progbits,_Z15throughput_testIiEvT_S0_S0_iPi,comdat
.Lfunc_end1:
	.size	_Z15throughput_testIiEvT_S0_S0_iPi, .Lfunc_end1-_Z15throughput_testIiEvT_S0_S0_iPi
                                        ; -- End function
	.section	.AMDGPU.csdata,"",@progbits
; Kernel info:
; codeLenInByte = 456
; NumSgprs: 13
; NumVgprs: 8
; NumAgprs: 0
; TotalNumVgprs: 8
; ScratchSize: 0
; MemoryBound: 0
; FloatMode: 240
; IeeeMode: 1
; LDSByteSize: 0 bytes/workgroup (compile time only)
; SGPRBlocks: 1
; VGPRBlocks: 0
; NumSGPRsForWavesPerEU: 13
; NumVGPRsForWavesPerEU: 8
; AccumOffset: 8
; Occupancy: 8
; WaveLimiterHint : 0
; COMPUTE_PGM_RSRC2:SCRATCH_EN: 0
; COMPUTE_PGM_RSRC2:USER_SGPR: 6
; COMPUTE_PGM_RSRC2:TRAP_HANDLER: 0
; COMPUTE_PGM_RSRC2:TGID_X_EN: 1
; COMPUTE_PGM_RSRC2:TGID_Y_EN: 0
; COMPUTE_PGM_RSRC2:TGID_Z_EN: 0
; COMPUTE_PGM_RSRC2:TIDIG_COMP_CNT: 0
; COMPUTE_PGM_RSRC3_GFX90A:ACCUM_OFFSET: 1
; COMPUTE_PGM_RSRC3_GFX90A:TG_SPLIT: 0
	.section	.text._Z15throughput_testI11int_fastdivEvT_S1_S1_iPi,"axG",@progbits,_Z15throughput_testI11int_fastdivEvT_S1_S1_iPi,comdat
	.protected	_Z15throughput_testI11int_fastdivEvT_S1_S1_iPi ; -- Begin function _Z15throughput_testI11int_fastdivEvT_S1_S1_iPi
	.globl	_Z15throughput_testI11int_fastdivEvT_S1_S1_iPi
	.p2align	8
	.type	_Z15throughput_testI11int_fastdivEvT_S1_S1_iPi,@function
_Z15throughput_testI11int_fastdivEvT_S1_S1_iPi: ; @_Z15throughput_testI11int_fastdivEvT_S1_S1_iPi
; %bb.0:
	s_load_dword s7, s[4:5], 0x4c
	s_load_dwordx8 s[8:15], s[4:5], 0x4
	s_load_dwordx4 s[0:3], s[4:5], 0x24
	s_waitcnt lgkmcnt(0)
	s_and_b32 s7, s7, 0xffff
	s_mul_i32 s6, s6, s7
	v_add_u32_e32 v2, s6, v0
	v_mul_hi_i32 v0, v2, s8
	v_mad_u64_u32 v[0:1], s[6:7], v2, s10, v[0:1]
	v_ashrrev_i32_e32 v1, s9, v0
	v_lshrrev_b32_e32 v3, 31, v0
	s_cmp_lt_i32 s9, 0
	v_add_u32_e32 v1, v3, v1
	s_cselect_b64 vcc, -1, 0
	v_cndmask_b32_e32 v3, v1, v0, vcc
	v_mul_hi_i32 v0, v2, s12
	v_mad_u64_u32 v[0:1], s[6:7], v2, s14, v[0:1]
	v_ashrrev_i32_e32 v1, s13, v0
	v_lshrrev_b32_e32 v4, 31, v0
	s_cmp_lt_i32 s13, 0
	v_add_u32_e32 v1, v4, v1
	s_cselect_b64 vcc, -1, 0
	v_cndmask_b32_e32 v4, v1, v0, vcc
	;; [unrolled: 8-line block ×3, first 2 shown]
	v_add3_u32 v0, v3, v4, v0
	s_cmp_lg_u32 s3, 0
	v_cmp_ne_u32_e32 vcc, 0, v0
	s_cselect_b64 s[0:1], -1, 0
	s_and_b64 s[0:1], s[0:1], vcc
	s_and_saveexec_b64 s[2:3], s[0:1]
	s_cbranch_execz .LBB2_2
; %bb.1:
	s_load_dwordx2 s[0:1], s[4:5], 0x38
	v_mov_b32_e32 v1, 0
	s_waitcnt lgkmcnt(0)
	global_store_dword v1, v0, s[0:1]
.LBB2_2:
	s_endpgm
	.section	.rodata,"a",@progbits
	.p2align	6, 0x0
	.amdhsa_kernel _Z15throughput_testI11int_fastdivEvT_S1_S1_iPi
		.amdhsa_group_segment_fixed_size 0
		.amdhsa_private_segment_fixed_size 0
		.amdhsa_kernarg_size 320
		.amdhsa_user_sgpr_count 6
		.amdhsa_user_sgpr_private_segment_buffer 1
		.amdhsa_user_sgpr_dispatch_ptr 0
		.amdhsa_user_sgpr_queue_ptr 0
		.amdhsa_user_sgpr_kernarg_segment_ptr 1
		.amdhsa_user_sgpr_dispatch_id 0
		.amdhsa_user_sgpr_flat_scratch_init 0
		.amdhsa_user_sgpr_kernarg_preload_length 0
		.amdhsa_user_sgpr_kernarg_preload_offset 0
		.amdhsa_user_sgpr_private_segment_size 0
		.amdhsa_uses_dynamic_stack 0
		.amdhsa_system_sgpr_private_segment_wavefront_offset 0
		.amdhsa_system_sgpr_workgroup_id_x 1
		.amdhsa_system_sgpr_workgroup_id_y 0
		.amdhsa_system_sgpr_workgroup_id_z 0
		.amdhsa_system_sgpr_workgroup_info 0
		.amdhsa_system_vgpr_workitem_id 0
		.amdhsa_next_free_vgpr 5
		.amdhsa_next_free_sgpr 16
		.amdhsa_accum_offset 8
		.amdhsa_reserve_vcc 1
		.amdhsa_reserve_flat_scratch 0
		.amdhsa_float_round_mode_32 0
		.amdhsa_float_round_mode_16_64 0
		.amdhsa_float_denorm_mode_32 3
		.amdhsa_float_denorm_mode_16_64 3
		.amdhsa_dx10_clamp 1
		.amdhsa_ieee_mode 1
		.amdhsa_fp16_overflow 0
		.amdhsa_tg_split 0
		.amdhsa_exception_fp_ieee_invalid_op 0
		.amdhsa_exception_fp_denorm_src 0
		.amdhsa_exception_fp_ieee_div_zero 0
		.amdhsa_exception_fp_ieee_overflow 0
		.amdhsa_exception_fp_ieee_underflow 0
		.amdhsa_exception_fp_ieee_inexact 0
		.amdhsa_exception_int_div_zero 0
	.end_amdhsa_kernel
	.section	.text._Z15throughput_testI11int_fastdivEvT_S1_S1_iPi,"axG",@progbits,_Z15throughput_testI11int_fastdivEvT_S1_S1_iPi,comdat
.Lfunc_end2:
	.size	_Z15throughput_testI11int_fastdivEvT_S1_S1_iPi, .Lfunc_end2-_Z15throughput_testI11int_fastdivEvT_S1_S1_iPi
                                        ; -- End function
	.section	.AMDGPU.csdata,"",@progbits
; Kernel info:
; codeLenInByte = 224
; NumSgprs: 20
; NumVgprs: 5
; NumAgprs: 0
; TotalNumVgprs: 5
; ScratchSize: 0
; MemoryBound: 0
; FloatMode: 240
; IeeeMode: 1
; LDSByteSize: 0 bytes/workgroup (compile time only)
; SGPRBlocks: 2
; VGPRBlocks: 0
; NumSGPRsForWavesPerEU: 20
; NumVGPRsForWavesPerEU: 5
; AccumOffset: 8
; Occupancy: 8
; WaveLimiterHint : 0
; COMPUTE_PGM_RSRC2:SCRATCH_EN: 0
; COMPUTE_PGM_RSRC2:USER_SGPR: 6
; COMPUTE_PGM_RSRC2:TRAP_HANDLER: 0
; COMPUTE_PGM_RSRC2:TGID_X_EN: 1
; COMPUTE_PGM_RSRC2:TGID_Y_EN: 0
; COMPUTE_PGM_RSRC2:TGID_Z_EN: 0
; COMPUTE_PGM_RSRC2:TIDIG_COMP_CNT: 0
; COMPUTE_PGM_RSRC3_GFX90A:ACCUM_OFFSET: 1
; COMPUTE_PGM_RSRC3_GFX90A:TG_SPLIT: 0
	.section	.text._Z12latency_testIiEvT_S0_S0_S0_S0_S0_S0_S0_S0_S0_iPi,"axG",@progbits,_Z12latency_testIiEvT_S0_S0_S0_S0_S0_S0_S0_S0_S0_iPi,comdat
	.protected	_Z12latency_testIiEvT_S0_S0_S0_S0_S0_S0_S0_S0_S0_iPi ; -- Begin function _Z12latency_testIiEvT_S0_S0_S0_S0_S0_S0_S0_S0_S0_iPi
	.globl	_Z12latency_testIiEvT_S0_S0_S0_S0_S0_S0_S0_S0_S0_iPi
	.p2align	8
	.type	_Z12latency_testIiEvT_S0_S0_S0_S0_S0_S0_S0_S0_S0_iPi,@function
_Z12latency_testIiEvT_S0_S0_S0_S0_S0_S0_S0_S0_S0_iPi: ; @_Z12latency_testIiEvT_S0_S0_S0_S0_S0_S0_S0_S0_S0_iPi
; %bb.0:
	s_load_dwordx8 s[8:15], s[4:5], 0x0
	s_load_dword s7, s[4:5], 0x44
	s_load_dwordx4 s[0:3], s[4:5], 0x20
	s_waitcnt lgkmcnt(0)
	s_abs_i32 s16, s8
	v_cvt_f32_u32_e32 v1, s16
	s_and_b32 s3, s7, 0xffff
	s_mul_i32 s6, s6, s3
	v_add_u32_e32 v0, s6, v0
	v_rcp_iflag_f32_e32 v1, v1
	s_sub_i32 s3, 0, s16
	v_sub_u32_e32 v3, 0, v0
	v_xor_b32_e32 v2, s8, v0
	v_mul_f32_e32 v1, 0x4f7ffffe, v1
	v_cvt_u32_f32_e32 v1, v1
	v_max_i32_e32 v0, v0, v3
	v_ashrrev_i32_e32 v2, 31, v2
	v_mul_lo_u32 v3, s3, v1
	v_mul_hi_u32 v3, v1, v3
	v_add_u32_e32 v1, v1, v3
	v_mul_hi_u32 v1, v0, v1
	v_mul_lo_u32 v3, v1, s16
	v_sub_u32_e32 v0, v0, v3
	v_add_u32_e32 v4, 1, v1
	v_cmp_le_u32_e32 vcc, s16, v0
	s_abs_i32 s3, s9
	v_cndmask_b32_e32 v1, v1, v4, vcc
	v_cvt_f32_u32_e32 v4, s3
	v_subrev_u32_e32 v3, s16, v0
	v_cndmask_b32_e32 v0, v0, v3, vcc
	v_add_u32_e32 v3, 1, v1
	v_cmp_le_u32_e32 vcc, s16, v0
	v_cndmask_b32_e32 v0, v1, v3, vcc
	v_rcp_iflag_f32_e32 v1, v4
	v_xor_b32_e32 v0, v0, v2
	v_sub_u32_e32 v0, v0, v2
	v_sub_u32_e32 v3, 0, v0
	v_mul_f32_e32 v1, 0x4f7ffffe, v1
	v_cvt_u32_f32_e32 v1, v1
	s_sub_i32 s6, 0, s3
	v_xor_b32_e32 v2, s9, v0
	v_max_i32_e32 v0, v0, v3
	v_mul_lo_u32 v3, s6, v1
	v_mul_hi_u32 v3, v1, v3
	v_add_u32_e32 v1, v1, v3
	v_mul_hi_u32 v1, v0, v1
	v_mul_lo_u32 v3, v1, s3
	v_sub_u32_e32 v0, v0, v3
	s_abs_i32 s6, s10
	v_add_u32_e32 v3, 1, v1
	v_cmp_le_u32_e32 vcc, s3, v0
	v_cvt_f32_u32_e32 v4, s6
	v_cndmask_b32_e32 v1, v1, v3, vcc
	v_subrev_u32_e32 v3, s3, v0
	v_cndmask_b32_e32 v0, v0, v3, vcc
	v_add_u32_e32 v3, 1, v1
	v_cmp_le_u32_e32 vcc, s3, v0
	v_cndmask_b32_e32 v0, v1, v3, vcc
	v_rcp_iflag_f32_e32 v1, v4
	v_ashrrev_i32_e32 v2, 31, v2
	v_xor_b32_e32 v0, v0, v2
	v_sub_u32_e32 v0, v0, v2
	v_mul_f32_e32 v1, 0x4f7ffffe, v1
	v_cvt_u32_f32_e32 v1, v1
	v_sub_u32_e32 v3, 0, v0
	s_sub_i32 s3, 0, s6
	v_xor_b32_e32 v2, s10, v0
	v_max_i32_e32 v0, v0, v3
	v_mul_lo_u32 v3, s3, v1
	v_mul_hi_u32 v3, v1, v3
	v_add_u32_e32 v1, v1, v3
	v_mul_hi_u32 v1, v0, v1
	v_mul_lo_u32 v3, v1, s6
	v_sub_u32_e32 v0, v0, v3
	s_abs_i32 s3, s11
	v_add_u32_e32 v3, 1, v1
	v_cmp_le_u32_e32 vcc, s6, v0
	v_cvt_f32_u32_e32 v4, s3
	v_cndmask_b32_e32 v1, v1, v3, vcc
	v_subrev_u32_e32 v3, s6, v0
	v_cndmask_b32_e32 v0, v0, v3, vcc
	v_add_u32_e32 v3, 1, v1
	v_cmp_le_u32_e32 vcc, s6, v0
	v_cndmask_b32_e32 v0, v1, v3, vcc
	v_rcp_iflag_f32_e32 v1, v4
	v_ashrrev_i32_e32 v2, 31, v2
	v_xor_b32_e32 v0, v0, v2
	v_sub_u32_e32 v0, v0, v2
	v_mul_f32_e32 v1, 0x4f7ffffe, v1
	v_cvt_u32_f32_e32 v1, v1
	v_sub_u32_e32 v3, 0, v0
	;; [unrolled: 26-line block ×6, first 2 shown]
	s_sub_i32 s6, 0, s3
	v_xor_b32_e32 v2, s15, v0
	v_max_i32_e32 v0, v0, v3
	v_mul_lo_u32 v3, s6, v1
	v_mul_hi_u32 v3, v1, v3
	v_add_u32_e32 v1, v1, v3
	v_mul_hi_u32 v1, v0, v1
	v_mul_lo_u32 v3, v1, s3
	v_sub_u32_e32 v0, v0, v3
	s_abs_i32 s6, s0
	v_add_u32_e32 v3, 1, v1
	v_cmp_le_u32_e32 vcc, s3, v0
	v_cvt_f32_u32_e32 v4, s6
	v_cndmask_b32_e32 v1, v1, v3, vcc
	v_subrev_u32_e32 v3, s3, v0
	v_cndmask_b32_e32 v0, v0, v3, vcc
	v_add_u32_e32 v3, 1, v1
	v_cmp_le_u32_e32 vcc, s3, v0
	v_cndmask_b32_e32 v0, v1, v3, vcc
	v_rcp_iflag_f32_e32 v1, v4
	v_ashrrev_i32_e32 v2, 31, v2
	v_xor_b32_e32 v0, v0, v2
	v_sub_u32_e32 v0, v0, v2
	v_mul_f32_e32 v1, 0x4f7ffffe, v1
	v_cvt_u32_f32_e32 v1, v1
	v_xor_b32_e32 v2, s0, v0
	v_sub_u32_e32 v3, 0, v0
	s_sub_i32 s0, 0, s6
	v_max_i32_e32 v0, v0, v3
	v_mul_lo_u32 v3, s0, v1
	v_mul_hi_u32 v3, v1, v3
	v_add_u32_e32 v1, v1, v3
	v_mul_hi_u32 v1, v0, v1
	v_mul_lo_u32 v3, v1, s6
	v_sub_u32_e32 v0, v0, v3
	s_abs_i32 s0, s1
	v_add_u32_e32 v3, 1, v1
	v_cmp_le_u32_e32 vcc, s6, v0
	v_cvt_f32_u32_e32 v4, s0
	v_cndmask_b32_e32 v1, v1, v3, vcc
	v_subrev_u32_e32 v3, s6, v0
	v_cndmask_b32_e32 v0, v0, v3, vcc
	v_add_u32_e32 v3, 1, v1
	v_cmp_le_u32_e32 vcc, s6, v0
	v_cndmask_b32_e32 v0, v1, v3, vcc
	v_rcp_iflag_f32_e32 v1, v4
	v_ashrrev_i32_e32 v2, 31, v2
	v_xor_b32_e32 v0, v0, v2
	v_sub_u32_e32 v0, v0, v2
	v_mul_f32_e32 v1, 0x4f7ffffe, v1
	v_cvt_u32_f32_e32 v1, v1
	v_xor_b32_e32 v2, s1, v0
	v_sub_u32_e32 v3, 0, v0
	s_sub_i32 s1, 0, s0
	v_max_i32_e32 v0, v0, v3
	v_mul_lo_u32 v3, s1, v1
	v_mul_hi_u32 v3, v1, v3
	v_add_u32_e32 v1, v1, v3
	v_mul_hi_u32 v1, v0, v1
	v_mul_lo_u32 v3, v1, s0
	v_sub_u32_e32 v0, v0, v3
	v_add_u32_e32 v3, 1, v1
	v_cmp_le_u32_e32 vcc, s0, v0
	v_cndmask_b32_e32 v1, v1, v3, vcc
	v_subrev_u32_e32 v3, s0, v0
	v_cndmask_b32_e32 v0, v0, v3, vcc
	v_add_u32_e32 v3, 1, v1
	v_cmp_le_u32_e32 vcc, s0, v0
	v_ashrrev_i32_e32 v2, 31, v2
	v_cndmask_b32_e32 v0, v1, v3, vcc
	v_xor_b32_e32 v0, v0, v2
	v_sub_u32_e32 v0, v0, v2
	s_cmp_lg_u32 s2, 0
	v_cmp_ne_u32_e32 vcc, 0, v0
	s_cselect_b64 s[0:1], -1, 0
	s_and_b64 s[0:1], s[0:1], vcc
	s_and_saveexec_b64 s[2:3], s[0:1]
	s_cbranch_execz .LBB3_2
; %bb.1:
	s_load_dwordx2 s[0:1], s[4:5], 0x30
	v_mov_b32_e32 v1, 0
	s_waitcnt lgkmcnt(0)
	global_store_dword v1, v0, s[0:1]
.LBB3_2:
	s_endpgm
	.section	.rodata,"a",@progbits
	.p2align	6, 0x0
	.amdhsa_kernel _Z12latency_testIiEvT_S0_S0_S0_S0_S0_S0_S0_S0_S0_iPi
		.amdhsa_group_segment_fixed_size 0
		.amdhsa_private_segment_fixed_size 0
		.amdhsa_kernarg_size 312
		.amdhsa_user_sgpr_count 6
		.amdhsa_user_sgpr_private_segment_buffer 1
		.amdhsa_user_sgpr_dispatch_ptr 0
		.amdhsa_user_sgpr_queue_ptr 0
		.amdhsa_user_sgpr_kernarg_segment_ptr 1
		.amdhsa_user_sgpr_dispatch_id 0
		.amdhsa_user_sgpr_flat_scratch_init 0
		.amdhsa_user_sgpr_kernarg_preload_length 0
		.amdhsa_user_sgpr_kernarg_preload_offset 0
		.amdhsa_user_sgpr_private_segment_size 0
		.amdhsa_uses_dynamic_stack 0
		.amdhsa_system_sgpr_private_segment_wavefront_offset 0
		.amdhsa_system_sgpr_workgroup_id_x 1
		.amdhsa_system_sgpr_workgroup_id_y 0
		.amdhsa_system_sgpr_workgroup_id_z 0
		.amdhsa_system_sgpr_workgroup_info 0
		.amdhsa_system_vgpr_workitem_id 0
		.amdhsa_next_free_vgpr 5
		.amdhsa_next_free_sgpr 17
		.amdhsa_accum_offset 8
		.amdhsa_reserve_vcc 1
		.amdhsa_reserve_flat_scratch 0
		.amdhsa_float_round_mode_32 0
		.amdhsa_float_round_mode_16_64 0
		.amdhsa_float_denorm_mode_32 3
		.amdhsa_float_denorm_mode_16_64 3
		.amdhsa_dx10_clamp 1
		.amdhsa_ieee_mode 1
		.amdhsa_fp16_overflow 0
		.amdhsa_tg_split 0
		.amdhsa_exception_fp_ieee_invalid_op 0
		.amdhsa_exception_fp_denorm_src 0
		.amdhsa_exception_fp_ieee_div_zero 0
		.amdhsa_exception_fp_ieee_overflow 0
		.amdhsa_exception_fp_ieee_underflow 0
		.amdhsa_exception_fp_ieee_inexact 0
		.amdhsa_exception_int_div_zero 0
	.end_amdhsa_kernel
	.section	.text._Z12latency_testIiEvT_S0_S0_S0_S0_S0_S0_S0_S0_S0_iPi,"axG",@progbits,_Z12latency_testIiEvT_S0_S0_S0_S0_S0_S0_S0_S0_S0_iPi,comdat
.Lfunc_end3:
	.size	_Z12latency_testIiEvT_S0_S0_S0_S0_S0_S0_S0_S0_S0_iPi, .Lfunc_end3-_Z12latency_testIiEvT_S0_S0_S0_S0_S0_S0_S0_S0_S0_iPi
                                        ; -- End function
	.section	.AMDGPU.csdata,"",@progbits
; Kernel info:
; codeLenInByte = 1336
; NumSgprs: 21
; NumVgprs: 5
; NumAgprs: 0
; TotalNumVgprs: 5
; ScratchSize: 0
; MemoryBound: 0
; FloatMode: 240
; IeeeMode: 1
; LDSByteSize: 0 bytes/workgroup (compile time only)
; SGPRBlocks: 2
; VGPRBlocks: 0
; NumSGPRsForWavesPerEU: 21
; NumVGPRsForWavesPerEU: 5
; AccumOffset: 8
; Occupancy: 8
; WaveLimiterHint : 0
; COMPUTE_PGM_RSRC2:SCRATCH_EN: 0
; COMPUTE_PGM_RSRC2:USER_SGPR: 6
; COMPUTE_PGM_RSRC2:TRAP_HANDLER: 0
; COMPUTE_PGM_RSRC2:TGID_X_EN: 1
; COMPUTE_PGM_RSRC2:TGID_Y_EN: 0
; COMPUTE_PGM_RSRC2:TGID_Z_EN: 0
; COMPUTE_PGM_RSRC2:TIDIG_COMP_CNT: 0
; COMPUTE_PGM_RSRC3_GFX90A:ACCUM_OFFSET: 1
; COMPUTE_PGM_RSRC3_GFX90A:TG_SPLIT: 0
	.section	.text._Z12latency_testI11int_fastdivEvT_S1_S1_S1_S1_S1_S1_S1_S1_S1_iPi,"axG",@progbits,_Z12latency_testI11int_fastdivEvT_S1_S1_S1_S1_S1_S1_S1_S1_S1_iPi,comdat
	.protected	_Z12latency_testI11int_fastdivEvT_S1_S1_S1_S1_S1_S1_S1_S1_S1_iPi ; -- Begin function _Z12latency_testI11int_fastdivEvT_S1_S1_S1_S1_S1_S1_S1_S1_S1_iPi
	.globl	_Z12latency_testI11int_fastdivEvT_S1_S1_S1_S1_S1_S1_S1_S1_S1_iPi
	.p2align	8
	.type	_Z12latency_testI11int_fastdivEvT_S1_S1_S1_S1_S1_S1_S1_S1_S1_iPi,@function
_Z12latency_testI11int_fastdivEvT_S1_S1_S1_S1_S1_S1_S1_S1_S1_iPi: ; @_Z12latency_testI11int_fastdivEvT_S1_S1_S1_S1_S1_S1_S1_S1_S1_iPi
; %bb.0:
	s_load_dword s9, s[4:5], 0x0
	s_load_dword s10, s[4:5], 0x10
	;; [unrolled: 1-line block ×10, first 2 shown]
	s_waitcnt lgkmcnt(0)
	s_abs_i32 s15, s9
	v_cvt_f32_u32_e32 v1, s15
	s_load_dword s0, s[4:5], 0xa0
	s_load_dword s1, s[4:5], 0x90
	s_and_b32 s14, s14, 0xffff
	v_rcp_iflag_f32_e32 v1, v1
	s_mul_i32 s6, s6, s14
	v_add_u32_e32 v0, s6, v0
	v_sub_u32_e32 v3, 0, v0
	v_mul_f32_e32 v1, 0x4f7ffffe, v1
	v_cvt_u32_f32_e32 v1, v1
	s_sub_i32 s6, 0, s15
	v_xor_b32_e32 v2, s9, v0
	v_max_i32_e32 v0, v0, v3
	v_mul_lo_u32 v3, s6, v1
	v_mul_hi_u32 v3, v1, v3
	v_add_u32_e32 v1, v1, v3
	v_mul_hi_u32 v1, v0, v1
	v_mul_lo_u32 v3, v1, s15
	v_sub_u32_e32 v0, v0, v3
	s_abs_i32 s6, s10
	v_add_u32_e32 v3, 1, v1
	v_cmp_le_u32_e32 vcc, s15, v0
	v_cvt_f32_u32_e32 v4, s6
	v_cndmask_b32_e32 v1, v1, v3, vcc
	v_subrev_u32_e32 v3, s15, v0
	v_cndmask_b32_e32 v0, v0, v3, vcc
	v_add_u32_e32 v3, 1, v1
	v_cmp_le_u32_e32 vcc, s15, v0
	v_cndmask_b32_e32 v0, v1, v3, vcc
	v_rcp_iflag_f32_e32 v1, v4
	v_ashrrev_i32_e32 v2, 31, v2
	v_xor_b32_e32 v0, v0, v2
	v_sub_u32_e32 v0, v0, v2
	v_mul_f32_e32 v1, 0x4f7ffffe, v1
	v_cvt_u32_f32_e32 v1, v1
	v_sub_u32_e32 v3, 0, v0
	s_sub_i32 s9, 0, s6
	v_xor_b32_e32 v2, s10, v0
	v_max_i32_e32 v0, v0, v3
	v_mul_lo_u32 v3, s9, v1
	v_mul_hi_u32 v3, v1, v3
	v_add_u32_e32 v1, v1, v3
	v_mul_hi_u32 v1, v0, v1
	v_mul_lo_u32 v3, v1, s6
	v_sub_u32_e32 v0, v0, v3
	s_abs_i32 s9, s11
	v_add_u32_e32 v3, 1, v1
	v_cmp_le_u32_e32 vcc, s6, v0
	v_cvt_f32_u32_e32 v4, s9
	v_cndmask_b32_e32 v1, v1, v3, vcc
	v_subrev_u32_e32 v3, s6, v0
	v_cndmask_b32_e32 v0, v0, v3, vcc
	v_add_u32_e32 v3, 1, v1
	v_cmp_le_u32_e32 vcc, s6, v0
	v_cndmask_b32_e32 v0, v1, v3, vcc
	v_rcp_iflag_f32_e32 v1, v4
	v_ashrrev_i32_e32 v2, 31, v2
	v_xor_b32_e32 v0, v0, v2
	v_sub_u32_e32 v0, v0, v2
	v_mul_f32_e32 v1, 0x4f7ffffe, v1
	v_cvt_u32_f32_e32 v1, v1
	v_sub_u32_e32 v3, 0, v0
	;; [unrolled: 26-line block ×4, first 2 shown]
	s_sub_i32 s6, 0, s9
	v_xor_b32_e32 v2, s13, v0
	v_max_i32_e32 v0, v0, v3
	v_mul_lo_u32 v3, s6, v1
	v_mul_hi_u32 v3, v1, v3
	v_add_u32_e32 v1, v1, v3
	v_mul_hi_u32 v1, v0, v1
	v_mul_lo_u32 v3, v1, s9
	v_sub_u32_e32 v0, v0, v3
	s_abs_i32 s6, s8
	v_add_u32_e32 v3, 1, v1
	v_cmp_le_u32_e32 vcc, s9, v0
	v_cvt_f32_u32_e32 v4, s6
	v_cndmask_b32_e32 v1, v1, v3, vcc
	v_subrev_u32_e32 v3, s9, v0
	v_cndmask_b32_e32 v0, v0, v3, vcc
	v_add_u32_e32 v3, 1, v1
	v_cmp_le_u32_e32 vcc, s9, v0
	v_cndmask_b32_e32 v0, v1, v3, vcc
	v_rcp_iflag_f32_e32 v1, v4
	v_ashrrev_i32_e32 v2, 31, v2
	v_xor_b32_e32 v0, v0, v2
	v_sub_u32_e32 v0, v0, v2
	v_mul_f32_e32 v1, 0x4f7ffffe, v1
	v_cvt_u32_f32_e32 v1, v1
	v_xor_b32_e32 v2, s8, v0
	v_sub_u32_e32 v3, 0, v0
	s_sub_i32 s8, 0, s6
	v_max_i32_e32 v0, v0, v3
	v_mul_lo_u32 v3, s8, v1
	v_mul_hi_u32 v3, v1, v3
	v_add_u32_e32 v1, v1, v3
	v_mul_hi_u32 v1, v0, v1
	v_mul_lo_u32 v3, v1, s6
	v_sub_u32_e32 v0, v0, v3
	s_abs_i32 s8, s7
	v_add_u32_e32 v3, 1, v1
	v_cmp_le_u32_e32 vcc, s6, v0
	v_cvt_f32_u32_e32 v4, s8
	v_cndmask_b32_e32 v1, v1, v3, vcc
	v_subrev_u32_e32 v3, s6, v0
	v_cndmask_b32_e32 v0, v0, v3, vcc
	v_add_u32_e32 v3, 1, v1
	v_cmp_le_u32_e32 vcc, s6, v0
	v_cndmask_b32_e32 v0, v1, v3, vcc
	v_rcp_iflag_f32_e32 v1, v4
	v_ashrrev_i32_e32 v2, 31, v2
	v_xor_b32_e32 v0, v0, v2
	v_sub_u32_e32 v0, v0, v2
	v_mul_f32_e32 v1, 0x4f7ffffe, v1
	v_cvt_u32_f32_e32 v1, v1
	v_sub_u32_e32 v3, 0, v0
	s_sub_i32 s6, 0, s8
	v_xor_b32_e32 v2, s7, v0
	v_max_i32_e32 v0, v0, v3
	v_mul_lo_u32 v3, s6, v1
	v_mul_hi_u32 v3, v1, v3
	v_add_u32_e32 v1, v1, v3
	v_mul_hi_u32 v1, v0, v1
	v_mul_lo_u32 v3, v1, s8
	v_sub_u32_e32 v0, v0, v3
	s_abs_i32 s6, s3
	v_add_u32_e32 v3, 1, v1
	v_cmp_le_u32_e32 vcc, s8, v0
	v_cvt_f32_u32_e32 v4, s6
	v_cndmask_b32_e32 v1, v1, v3, vcc
	v_subrev_u32_e32 v3, s8, v0
	v_cndmask_b32_e32 v0, v0, v3, vcc
	v_add_u32_e32 v3, 1, v1
	v_cmp_le_u32_e32 vcc, s8, v0
	v_cndmask_b32_e32 v0, v1, v3, vcc
	v_rcp_iflag_f32_e32 v1, v4
	v_ashrrev_i32_e32 v2, 31, v2
	v_xor_b32_e32 v0, v0, v2
	v_sub_u32_e32 v0, v0, v2
	v_mul_f32_e32 v1, 0x4f7ffffe, v1
	v_cvt_u32_f32_e32 v1, v1
	v_xor_b32_e32 v2, s3, v0
	v_sub_u32_e32 v3, 0, v0
	s_sub_i32 s3, 0, s6
	v_max_i32_e32 v0, v0, v3
	v_mul_lo_u32 v3, s3, v1
	v_mul_hi_u32 v3, v1, v3
	v_add_u32_e32 v1, v1, v3
	v_mul_hi_u32 v1, v0, v1
	v_mul_lo_u32 v3, v1, s6
	v_sub_u32_e32 v0, v0, v3
	s_abs_i32 s3, s2
	v_add_u32_e32 v3, 1, v1
	v_cmp_le_u32_e32 vcc, s6, v0
	v_cvt_f32_u32_e32 v4, s3
	v_cndmask_b32_e32 v1, v1, v3, vcc
	v_subrev_u32_e32 v3, s6, v0
	v_cndmask_b32_e32 v0, v0, v3, vcc
	v_add_u32_e32 v3, 1, v1
	v_cmp_le_u32_e32 vcc, s6, v0
	v_cndmask_b32_e32 v0, v1, v3, vcc
	v_rcp_iflag_f32_e32 v1, v4
	v_ashrrev_i32_e32 v2, 31, v2
	v_xor_b32_e32 v0, v0, v2
	v_sub_u32_e32 v0, v0, v2
	v_mul_f32_e32 v1, 0x4f7ffffe, v1
	v_cvt_u32_f32_e32 v1, v1
	v_xor_b32_e32 v2, s2, v0
	v_sub_u32_e32 v3, 0, v0
	s_sub_i32 s2, 0, s3
	v_max_i32_e32 v0, v0, v3
	v_mul_lo_u32 v3, s2, v1
	v_mul_hi_u32 v3, v1, v3
	v_add_u32_e32 v1, v1, v3
	v_mul_hi_u32 v1, v0, v1
	v_mul_lo_u32 v3, v1, s3
	v_sub_u32_e32 v0, v0, v3
	s_waitcnt lgkmcnt(0)
	s_abs_i32 s2, s1
	v_add_u32_e32 v3, 1, v1
	v_cmp_le_u32_e32 vcc, s3, v0
	v_cvt_f32_u32_e32 v4, s2
	v_cndmask_b32_e32 v1, v1, v3, vcc
	v_subrev_u32_e32 v3, s3, v0
	v_cndmask_b32_e32 v0, v0, v3, vcc
	v_add_u32_e32 v3, 1, v1
	v_cmp_le_u32_e32 vcc, s3, v0
	v_cndmask_b32_e32 v0, v1, v3, vcc
	v_rcp_iflag_f32_e32 v1, v4
	v_ashrrev_i32_e32 v2, 31, v2
	v_xor_b32_e32 v0, v0, v2
	v_sub_u32_e32 v0, v0, v2
	v_mul_f32_e32 v1, 0x4f7ffffe, v1
	v_cvt_u32_f32_e32 v1, v1
	v_xor_b32_e32 v2, s1, v0
	v_sub_u32_e32 v3, 0, v0
	s_sub_i32 s1, 0, s2
	v_max_i32_e32 v0, v0, v3
	v_mul_lo_u32 v3, s1, v1
	v_mul_hi_u32 v3, v1, v3
	v_add_u32_e32 v1, v1, v3
	v_mul_hi_u32 v1, v0, v1
	v_mul_lo_u32 v3, v1, s2
	v_sub_u32_e32 v0, v0, v3
	v_add_u32_e32 v3, 1, v1
	v_cmp_le_u32_e32 vcc, s2, v0
	v_cndmask_b32_e32 v1, v1, v3, vcc
	v_subrev_u32_e32 v3, s2, v0
	v_cndmask_b32_e32 v0, v0, v3, vcc
	v_add_u32_e32 v3, 1, v1
	v_cmp_le_u32_e32 vcc, s2, v0
	v_ashrrev_i32_e32 v2, 31, v2
	v_cndmask_b32_e32 v0, v1, v3, vcc
	v_xor_b32_e32 v0, v0, v2
	v_sub_u32_e32 v0, v0, v2
	s_cmp_lg_u32 s0, 0
	v_cmp_ne_u32_e32 vcc, 0, v0
	s_cselect_b64 s[0:1], -1, 0
	s_and_b64 s[0:1], s[0:1], vcc
	s_and_saveexec_b64 s[2:3], s[0:1]
	s_cbranch_execz .LBB4_2
; %bb.1:
	s_load_dwordx2 s[0:1], s[4:5], 0xa8
	v_mov_b32_e32 v1, 0
	s_waitcnt lgkmcnt(0)
	global_store_dword v1, v0, s[0:1]
.LBB4_2:
	s_endpgm
	.section	.rodata,"a",@progbits
	.p2align	6, 0x0
	.amdhsa_kernel _Z12latency_testI11int_fastdivEvT_S1_S1_S1_S1_S1_S1_S1_S1_S1_iPi
		.amdhsa_group_segment_fixed_size 0
		.amdhsa_private_segment_fixed_size 0
		.amdhsa_kernarg_size 432
		.amdhsa_user_sgpr_count 6
		.amdhsa_user_sgpr_private_segment_buffer 1
		.amdhsa_user_sgpr_dispatch_ptr 0
		.amdhsa_user_sgpr_queue_ptr 0
		.amdhsa_user_sgpr_kernarg_segment_ptr 1
		.amdhsa_user_sgpr_dispatch_id 0
		.amdhsa_user_sgpr_flat_scratch_init 0
		.amdhsa_user_sgpr_kernarg_preload_length 0
		.amdhsa_user_sgpr_kernarg_preload_offset 0
		.amdhsa_user_sgpr_private_segment_size 0
		.amdhsa_uses_dynamic_stack 0
		.amdhsa_system_sgpr_private_segment_wavefront_offset 0
		.amdhsa_system_sgpr_workgroup_id_x 1
		.amdhsa_system_sgpr_workgroup_id_y 0
		.amdhsa_system_sgpr_workgroup_id_z 0
		.amdhsa_system_sgpr_workgroup_info 0
		.amdhsa_system_vgpr_workitem_id 0
		.amdhsa_next_free_vgpr 5
		.amdhsa_next_free_sgpr 16
		.amdhsa_accum_offset 8
		.amdhsa_reserve_vcc 1
		.amdhsa_reserve_flat_scratch 0
		.amdhsa_float_round_mode_32 0
		.amdhsa_float_round_mode_16_64 0
		.amdhsa_float_denorm_mode_32 3
		.amdhsa_float_denorm_mode_16_64 3
		.amdhsa_dx10_clamp 1
		.amdhsa_ieee_mode 1
		.amdhsa_fp16_overflow 0
		.amdhsa_tg_split 0
		.amdhsa_exception_fp_ieee_invalid_op 0
		.amdhsa_exception_fp_denorm_src 0
		.amdhsa_exception_fp_ieee_div_zero 0
		.amdhsa_exception_fp_ieee_overflow 0
		.amdhsa_exception_fp_ieee_underflow 0
		.amdhsa_exception_fp_ieee_inexact 0
		.amdhsa_exception_int_div_zero 0
	.end_amdhsa_kernel
	.section	.text._Z12latency_testI11int_fastdivEvT_S1_S1_S1_S1_S1_S1_S1_S1_S1_iPi,"axG",@progbits,_Z12latency_testI11int_fastdivEvT_S1_S1_S1_S1_S1_S1_S1_S1_S1_iPi,comdat
.Lfunc_end4:
	.size	_Z12latency_testI11int_fastdivEvT_S1_S1_S1_S1_S1_S1_S1_S1_S1_iPi, .Lfunc_end4-_Z12latency_testI11int_fastdivEvT_S1_S1_S1_S1_S1_S1_S1_S1_S1_iPi
                                        ; -- End function
	.section	.AMDGPU.csdata,"",@progbits
; Kernel info:
; codeLenInByte = 1412
; NumSgprs: 20
; NumVgprs: 5
; NumAgprs: 0
; TotalNumVgprs: 5
; ScratchSize: 0
; MemoryBound: 0
; FloatMode: 240
; IeeeMode: 1
; LDSByteSize: 0 bytes/workgroup (compile time only)
; SGPRBlocks: 2
; VGPRBlocks: 0
; NumSGPRsForWavesPerEU: 20
; NumVGPRsForWavesPerEU: 5
; AccumOffset: 8
; Occupancy: 8
; WaveLimiterHint : 1
; COMPUTE_PGM_RSRC2:SCRATCH_EN: 0
; COMPUTE_PGM_RSRC2:USER_SGPR: 6
; COMPUTE_PGM_RSRC2:TRAP_HANDLER: 0
; COMPUTE_PGM_RSRC2:TGID_X_EN: 1
; COMPUTE_PGM_RSRC2:TGID_Y_EN: 0
; COMPUTE_PGM_RSRC2:TGID_Z_EN: 0
; COMPUTE_PGM_RSRC2:TIDIG_COMP_CNT: 0
; COMPUTE_PGM_RSRC3_GFX90A:ACCUM_OFFSET: 1
; COMPUTE_PGM_RSRC3_GFX90A:TG_SPLIT: 0
	.text
	.p2alignl 6, 3212836864
	.fill 256, 4, 3212836864
	.type	__hip_cuid_ab2cae24f00a18f9,@object ; @__hip_cuid_ab2cae24f00a18f9
	.section	.bss,"aw",@nobits
	.globl	__hip_cuid_ab2cae24f00a18f9
__hip_cuid_ab2cae24f00a18f9:
	.byte	0                               ; 0x0
	.size	__hip_cuid_ab2cae24f00a18f9, 1

	.ident	"AMD clang version 19.0.0git (https://github.com/RadeonOpenCompute/llvm-project roc-6.4.0 25133 c7fe45cf4b819c5991fe208aaa96edf142730f1d)"
	.section	".note.GNU-stack","",@progbits
	.addrsig
	.addrsig_sym __hip_cuid_ab2cae24f00a18f9
	.amdgpu_metadata
---
amdhsa.kernels:
  - .agpr_count:     0
    .args:
      - .offset:         0
        .size:           16
        .value_kind:     by_value
      - .address_space:  global
        .offset:         16
        .size:           8
        .value_kind:     global_buffer
      - .offset:         24
        .size:           4
        .value_kind:     hidden_block_count_x
      - .offset:         28
        .size:           4
        .value_kind:     hidden_block_count_y
      - .offset:         32
        .size:           4
        .value_kind:     hidden_block_count_z
      - .offset:         36
        .size:           2
        .value_kind:     hidden_group_size_x
      - .offset:         38
        .size:           2
        .value_kind:     hidden_group_size_y
      - .offset:         40
        .size:           2
        .value_kind:     hidden_group_size_z
      - .offset:         42
        .size:           2
        .value_kind:     hidden_remainder_x
      - .offset:         44
        .size:           2
        .value_kind:     hidden_remainder_y
      - .offset:         46
        .size:           2
        .value_kind:     hidden_remainder_z
      - .offset:         64
        .size:           8
        .value_kind:     hidden_global_offset_x
      - .offset:         72
        .size:           8
        .value_kind:     hidden_global_offset_y
      - .offset:         80
        .size:           8
        .value_kind:     hidden_global_offset_z
      - .offset:         88
        .size:           2
        .value_kind:     hidden_grid_dims
    .group_segment_fixed_size: 0
    .kernarg_segment_align: 8
    .kernarg_segment_size: 280
    .language:       OpenCL C
    .language_version:
      - 2
      - 0
    .max_flat_workgroup_size: 1024
    .name:           _Z5check11int_fastdivPi
    .private_segment_fixed_size: 0
    .sgpr_count:     19
    .sgpr_spill_count: 0
    .symbol:         _Z5check11int_fastdivPi.kd
    .uniform_work_group_size: 1
    .uses_dynamic_stack: false
    .vgpr_count:     8
    .vgpr_spill_count: 0
    .wavefront_size: 64
  - .agpr_count:     0
    .args:
      - .offset:         0
        .size:           4
        .value_kind:     by_value
      - .offset:         4
        .size:           4
        .value_kind:     by_value
      - .offset:         8
        .size:           4
        .value_kind:     by_value
      - .offset:         12
        .size:           4
        .value_kind:     by_value
      - .address_space:  global
        .offset:         16
        .size:           8
        .value_kind:     global_buffer
      - .offset:         24
        .size:           4
        .value_kind:     hidden_block_count_x
      - .offset:         28
        .size:           4
        .value_kind:     hidden_block_count_y
      - .offset:         32
        .size:           4
        .value_kind:     hidden_block_count_z
      - .offset:         36
        .size:           2
        .value_kind:     hidden_group_size_x
      - .offset:         38
        .size:           2
        .value_kind:     hidden_group_size_y
      - .offset:         40
        .size:           2
        .value_kind:     hidden_group_size_z
      - .offset:         42
        .size:           2
        .value_kind:     hidden_remainder_x
      - .offset:         44
        .size:           2
        .value_kind:     hidden_remainder_y
      - .offset:         46
        .size:           2
        .value_kind:     hidden_remainder_z
      - .offset:         64
        .size:           8
        .value_kind:     hidden_global_offset_x
      - .offset:         72
        .size:           8
        .value_kind:     hidden_global_offset_y
      - .offset:         80
        .size:           8
        .value_kind:     hidden_global_offset_z
      - .offset:         88
        .size:           2
        .value_kind:     hidden_grid_dims
    .group_segment_fixed_size: 0
    .kernarg_segment_align: 8
    .kernarg_segment_size: 280
    .language:       OpenCL C
    .language_version:
      - 2
      - 0
    .max_flat_workgroup_size: 1024
    .name:           _Z15throughput_testIiEvT_S0_S0_iPi
    .private_segment_fixed_size: 0
    .sgpr_count:     13
    .sgpr_spill_count: 0
    .symbol:         _Z15throughput_testIiEvT_S0_S0_iPi.kd
    .uniform_work_group_size: 1
    .uses_dynamic_stack: false
    .vgpr_count:     8
    .vgpr_spill_count: 0
    .wavefront_size: 64
  - .agpr_count:     0
    .args:
      - .offset:         0
        .size:           16
        .value_kind:     by_value
      - .offset:         16
        .size:           16
        .value_kind:     by_value
      - .offset:         32
        .size:           16
        .value_kind:     by_value
      - .offset:         48
        .size:           4
        .value_kind:     by_value
      - .address_space:  global
        .offset:         56
        .size:           8
        .value_kind:     global_buffer
      - .offset:         64
        .size:           4
        .value_kind:     hidden_block_count_x
      - .offset:         68
        .size:           4
        .value_kind:     hidden_block_count_y
      - .offset:         72
        .size:           4
        .value_kind:     hidden_block_count_z
      - .offset:         76
        .size:           2
        .value_kind:     hidden_group_size_x
      - .offset:         78
        .size:           2
        .value_kind:     hidden_group_size_y
      - .offset:         80
        .size:           2
        .value_kind:     hidden_group_size_z
      - .offset:         82
        .size:           2
        .value_kind:     hidden_remainder_x
      - .offset:         84
        .size:           2
        .value_kind:     hidden_remainder_y
      - .offset:         86
        .size:           2
        .value_kind:     hidden_remainder_z
      - .offset:         104
        .size:           8
        .value_kind:     hidden_global_offset_x
      - .offset:         112
        .size:           8
        .value_kind:     hidden_global_offset_y
      - .offset:         120
        .size:           8
        .value_kind:     hidden_global_offset_z
      - .offset:         128
        .size:           2
        .value_kind:     hidden_grid_dims
    .group_segment_fixed_size: 0
    .kernarg_segment_align: 8
    .kernarg_segment_size: 320
    .language:       OpenCL C
    .language_version:
      - 2
      - 0
    .max_flat_workgroup_size: 1024
    .name:           _Z15throughput_testI11int_fastdivEvT_S1_S1_iPi
    .private_segment_fixed_size: 0
    .sgpr_count:     20
    .sgpr_spill_count: 0
    .symbol:         _Z15throughput_testI11int_fastdivEvT_S1_S1_iPi.kd
    .uniform_work_group_size: 1
    .uses_dynamic_stack: false
    .vgpr_count:     5
    .vgpr_spill_count: 0
    .wavefront_size: 64
  - .agpr_count:     0
    .args:
      - .offset:         0
        .size:           4
        .value_kind:     by_value
      - .offset:         4
        .size:           4
        .value_kind:     by_value
      - .offset:         8
        .size:           4
        .value_kind:     by_value
      - .offset:         12
        .size:           4
        .value_kind:     by_value
      - .offset:         16
        .size:           4
        .value_kind:     by_value
      - .offset:         20
        .size:           4
        .value_kind:     by_value
      - .offset:         24
        .size:           4
        .value_kind:     by_value
      - .offset:         28
        .size:           4
        .value_kind:     by_value
      - .offset:         32
        .size:           4
        .value_kind:     by_value
      - .offset:         36
        .size:           4
        .value_kind:     by_value
      - .offset:         40
        .size:           4
        .value_kind:     by_value
      - .address_space:  global
        .offset:         48
        .size:           8
        .value_kind:     global_buffer
      - .offset:         56
        .size:           4
        .value_kind:     hidden_block_count_x
      - .offset:         60
        .size:           4
        .value_kind:     hidden_block_count_y
      - .offset:         64
        .size:           4
        .value_kind:     hidden_block_count_z
      - .offset:         68
        .size:           2
        .value_kind:     hidden_group_size_x
      - .offset:         70
        .size:           2
        .value_kind:     hidden_group_size_y
      - .offset:         72
        .size:           2
        .value_kind:     hidden_group_size_z
      - .offset:         74
        .size:           2
        .value_kind:     hidden_remainder_x
      - .offset:         76
        .size:           2
        .value_kind:     hidden_remainder_y
      - .offset:         78
        .size:           2
        .value_kind:     hidden_remainder_z
      - .offset:         96
        .size:           8
        .value_kind:     hidden_global_offset_x
      - .offset:         104
        .size:           8
        .value_kind:     hidden_global_offset_y
      - .offset:         112
        .size:           8
        .value_kind:     hidden_global_offset_z
      - .offset:         120
        .size:           2
        .value_kind:     hidden_grid_dims
    .group_segment_fixed_size: 0
    .kernarg_segment_align: 8
    .kernarg_segment_size: 312
    .language:       OpenCL C
    .language_version:
      - 2
      - 0
    .max_flat_workgroup_size: 1024
    .name:           _Z12latency_testIiEvT_S0_S0_S0_S0_S0_S0_S0_S0_S0_iPi
    .private_segment_fixed_size: 0
    .sgpr_count:     21
    .sgpr_spill_count: 0
    .symbol:         _Z12latency_testIiEvT_S0_S0_S0_S0_S0_S0_S0_S0_S0_iPi.kd
    .uniform_work_group_size: 1
    .uses_dynamic_stack: false
    .vgpr_count:     5
    .vgpr_spill_count: 0
    .wavefront_size: 64
  - .agpr_count:     0
    .args:
      - .offset:         0
        .size:           16
        .value_kind:     by_value
      - .offset:         16
        .size:           16
        .value_kind:     by_value
      - .offset:         32
        .size:           16
        .value_kind:     by_value
      - .offset:         48
        .size:           16
        .value_kind:     by_value
      - .offset:         64
        .size:           16
        .value_kind:     by_value
      - .offset:         80
        .size:           16
        .value_kind:     by_value
      - .offset:         96
        .size:           16
        .value_kind:     by_value
      - .offset:         112
        .size:           16
        .value_kind:     by_value
      - .offset:         128
        .size:           16
        .value_kind:     by_value
      - .offset:         144
        .size:           16
        .value_kind:     by_value
      - .offset:         160
        .size:           4
        .value_kind:     by_value
      - .address_space:  global
        .offset:         168
        .size:           8
        .value_kind:     global_buffer
      - .offset:         176
        .size:           4
        .value_kind:     hidden_block_count_x
      - .offset:         180
        .size:           4
        .value_kind:     hidden_block_count_y
      - .offset:         184
        .size:           4
        .value_kind:     hidden_block_count_z
      - .offset:         188
        .size:           2
        .value_kind:     hidden_group_size_x
      - .offset:         190
        .size:           2
        .value_kind:     hidden_group_size_y
      - .offset:         192
        .size:           2
        .value_kind:     hidden_group_size_z
      - .offset:         194
        .size:           2
        .value_kind:     hidden_remainder_x
      - .offset:         196
        .size:           2
        .value_kind:     hidden_remainder_y
      - .offset:         198
        .size:           2
        .value_kind:     hidden_remainder_z
      - .offset:         216
        .size:           8
        .value_kind:     hidden_global_offset_x
      - .offset:         224
        .size:           8
        .value_kind:     hidden_global_offset_y
      - .offset:         232
        .size:           8
        .value_kind:     hidden_global_offset_z
      - .offset:         240
        .size:           2
        .value_kind:     hidden_grid_dims
    .group_segment_fixed_size: 0
    .kernarg_segment_align: 8
    .kernarg_segment_size: 432
    .language:       OpenCL C
    .language_version:
      - 2
      - 0
    .max_flat_workgroup_size: 1024
    .name:           _Z12latency_testI11int_fastdivEvT_S1_S1_S1_S1_S1_S1_S1_S1_S1_iPi
    .private_segment_fixed_size: 0
    .sgpr_count:     20
    .sgpr_spill_count: 0
    .symbol:         _Z12latency_testI11int_fastdivEvT_S1_S1_S1_S1_S1_S1_S1_S1_S1_iPi.kd
    .uniform_work_group_size: 1
    .uses_dynamic_stack: false
    .vgpr_count:     5
    .vgpr_spill_count: 0
    .wavefront_size: 64
amdhsa.target:   amdgcn-amd-amdhsa--gfx90a
amdhsa.version:
  - 1
  - 2
...

	.end_amdgpu_metadata
